;; amdgpu-corpus repo=ROCm/rocFFT kind=compiled arch=gfx906 opt=O3
	.text
	.amdgcn_target "amdgcn-amd-amdhsa--gfx906"
	.amdhsa_code_object_version 6
	.protected	fft_rtc_back_len484_factors_4_11_11_wgs_44_tpt_44_dp_ip_CI_unitstride_sbrr_R2C_dirReg ; -- Begin function fft_rtc_back_len484_factors_4_11_11_wgs_44_tpt_44_dp_ip_CI_unitstride_sbrr_R2C_dirReg
	.globl	fft_rtc_back_len484_factors_4_11_11_wgs_44_tpt_44_dp_ip_CI_unitstride_sbrr_R2C_dirReg
	.p2align	8
	.type	fft_rtc_back_len484_factors_4_11_11_wgs_44_tpt_44_dp_ip_CI_unitstride_sbrr_R2C_dirReg,@function
fft_rtc_back_len484_factors_4_11_11_wgs_44_tpt_44_dp_ip_CI_unitstride_sbrr_R2C_dirReg: ; @fft_rtc_back_len484_factors_4_11_11_wgs_44_tpt_44_dp_ip_CI_unitstride_sbrr_R2C_dirReg
; %bb.0:
	s_load_dwordx2 s[2:3], s[4:5], 0x50
	s_load_dwordx4 s[8:11], s[4:5], 0x0
	s_load_dwordx2 s[12:13], s[4:5], 0x18
	v_mul_u32_u24_e32 v1, 0x5d2, v0
	v_add_u32_sdwa v5, s6, v1 dst_sel:DWORD dst_unused:UNUSED_PAD src0_sel:DWORD src1_sel:WORD_1
	v_mov_b32_e32 v3, 0
	s_waitcnt lgkmcnt(0)
	v_cmp_lt_u64_e64 s[0:1], s[10:11], 2
	v_mov_b32_e32 v1, 0
	v_mov_b32_e32 v6, v3
	s_and_b64 vcc, exec, s[0:1]
	v_mov_b32_e32 v2, 0
	s_cbranch_vccnz .LBB0_8
; %bb.1:
	s_load_dwordx2 s[0:1], s[4:5], 0x10
	s_add_u32 s6, s12, 8
	s_addc_u32 s7, s13, 0
	v_mov_b32_e32 v1, 0
	v_mov_b32_e32 v2, 0
	s_waitcnt lgkmcnt(0)
	s_add_u32 s14, s0, 8
	s_addc_u32 s15, s1, 0
	s_mov_b64 s[16:17], 1
.LBB0_2:                                ; =>This Inner Loop Header: Depth=1
	s_load_dwordx2 s[18:19], s[14:15], 0x0
                                        ; implicit-def: $vgpr7_vgpr8
	s_waitcnt lgkmcnt(0)
	v_or_b32_e32 v4, s19, v6
	v_cmp_ne_u64_e32 vcc, 0, v[3:4]
	s_and_saveexec_b64 s[0:1], vcc
	s_xor_b64 s[20:21], exec, s[0:1]
	s_cbranch_execz .LBB0_4
; %bb.3:                                ;   in Loop: Header=BB0_2 Depth=1
	v_cvt_f32_u32_e32 v4, s18
	v_cvt_f32_u32_e32 v7, s19
	s_sub_u32 s0, 0, s18
	s_subb_u32 s1, 0, s19
	v_mac_f32_e32 v4, 0x4f800000, v7
	v_rcp_f32_e32 v4, v4
	v_mul_f32_e32 v4, 0x5f7ffffc, v4
	v_mul_f32_e32 v7, 0x2f800000, v4
	v_trunc_f32_e32 v7, v7
	v_mac_f32_e32 v4, 0xcf800000, v7
	v_cvt_u32_f32_e32 v7, v7
	v_cvt_u32_f32_e32 v4, v4
	v_mul_lo_u32 v8, s0, v7
	v_mul_hi_u32 v9, s0, v4
	v_mul_lo_u32 v11, s1, v4
	v_mul_lo_u32 v10, s0, v4
	v_add_u32_e32 v8, v9, v8
	v_add_u32_e32 v8, v8, v11
	v_mul_hi_u32 v9, v4, v10
	v_mul_lo_u32 v11, v4, v8
	v_mul_hi_u32 v13, v4, v8
	v_mul_hi_u32 v12, v7, v10
	v_mul_lo_u32 v10, v7, v10
	v_mul_hi_u32 v14, v7, v8
	v_add_co_u32_e32 v9, vcc, v9, v11
	v_addc_co_u32_e32 v11, vcc, 0, v13, vcc
	v_mul_lo_u32 v8, v7, v8
	v_add_co_u32_e32 v9, vcc, v9, v10
	v_addc_co_u32_e32 v9, vcc, v11, v12, vcc
	v_addc_co_u32_e32 v10, vcc, 0, v14, vcc
	v_add_co_u32_e32 v8, vcc, v9, v8
	v_addc_co_u32_e32 v9, vcc, 0, v10, vcc
	v_add_co_u32_e32 v4, vcc, v4, v8
	v_addc_co_u32_e32 v7, vcc, v7, v9, vcc
	v_mul_lo_u32 v8, s0, v7
	v_mul_hi_u32 v9, s0, v4
	v_mul_lo_u32 v10, s1, v4
	v_mul_lo_u32 v11, s0, v4
	v_add_u32_e32 v8, v9, v8
	v_add_u32_e32 v8, v8, v10
	v_mul_lo_u32 v12, v4, v8
	v_mul_hi_u32 v13, v4, v11
	v_mul_hi_u32 v14, v4, v8
	;; [unrolled: 1-line block ×3, first 2 shown]
	v_mul_lo_u32 v11, v7, v11
	v_mul_hi_u32 v9, v7, v8
	v_add_co_u32_e32 v12, vcc, v13, v12
	v_addc_co_u32_e32 v13, vcc, 0, v14, vcc
	v_mul_lo_u32 v8, v7, v8
	v_add_co_u32_e32 v11, vcc, v12, v11
	v_addc_co_u32_e32 v10, vcc, v13, v10, vcc
	v_addc_co_u32_e32 v9, vcc, 0, v9, vcc
	v_add_co_u32_e32 v8, vcc, v10, v8
	v_addc_co_u32_e32 v9, vcc, 0, v9, vcc
	v_add_co_u32_e32 v4, vcc, v4, v8
	v_addc_co_u32_e32 v9, vcc, v7, v9, vcc
	v_mad_u64_u32 v[7:8], s[0:1], v5, v9, 0
	v_mul_hi_u32 v10, v5, v4
	v_add_co_u32_e32 v11, vcc, v10, v7
	v_addc_co_u32_e32 v12, vcc, 0, v8, vcc
	v_mad_u64_u32 v[7:8], s[0:1], v6, v4, 0
	v_mad_u64_u32 v[9:10], s[0:1], v6, v9, 0
	v_add_co_u32_e32 v4, vcc, v11, v7
	v_addc_co_u32_e32 v4, vcc, v12, v8, vcc
	v_addc_co_u32_e32 v7, vcc, 0, v10, vcc
	v_add_co_u32_e32 v4, vcc, v4, v9
	v_addc_co_u32_e32 v9, vcc, 0, v7, vcc
	v_mul_lo_u32 v10, s19, v4
	v_mul_lo_u32 v11, s18, v9
	v_mad_u64_u32 v[7:8], s[0:1], s18, v4, 0
	v_add3_u32 v8, v8, v11, v10
	v_sub_u32_e32 v10, v6, v8
	v_mov_b32_e32 v11, s19
	v_sub_co_u32_e32 v7, vcc, v5, v7
	v_subb_co_u32_e64 v10, s[0:1], v10, v11, vcc
	v_subrev_co_u32_e64 v11, s[0:1], s18, v7
	v_subbrev_co_u32_e64 v10, s[0:1], 0, v10, s[0:1]
	v_cmp_le_u32_e64 s[0:1], s19, v10
	v_cndmask_b32_e64 v12, 0, -1, s[0:1]
	v_cmp_le_u32_e64 s[0:1], s18, v11
	v_cndmask_b32_e64 v11, 0, -1, s[0:1]
	v_cmp_eq_u32_e64 s[0:1], s19, v10
	v_cndmask_b32_e64 v10, v12, v11, s[0:1]
	v_add_co_u32_e64 v11, s[0:1], 2, v4
	v_addc_co_u32_e64 v12, s[0:1], 0, v9, s[0:1]
	v_add_co_u32_e64 v13, s[0:1], 1, v4
	v_addc_co_u32_e64 v14, s[0:1], 0, v9, s[0:1]
	v_subb_co_u32_e32 v8, vcc, v6, v8, vcc
	v_cmp_ne_u32_e64 s[0:1], 0, v10
	v_cmp_le_u32_e32 vcc, s19, v8
	v_cndmask_b32_e64 v10, v14, v12, s[0:1]
	v_cndmask_b32_e64 v12, 0, -1, vcc
	v_cmp_le_u32_e32 vcc, s18, v7
	v_cndmask_b32_e64 v7, 0, -1, vcc
	v_cmp_eq_u32_e32 vcc, s19, v8
	v_cndmask_b32_e32 v7, v12, v7, vcc
	v_cmp_ne_u32_e32 vcc, 0, v7
	v_cndmask_b32_e64 v7, v13, v11, s[0:1]
	v_cndmask_b32_e32 v8, v9, v10, vcc
	v_cndmask_b32_e32 v7, v4, v7, vcc
.LBB0_4:                                ;   in Loop: Header=BB0_2 Depth=1
	s_andn2_saveexec_b64 s[0:1], s[20:21]
	s_cbranch_execz .LBB0_6
; %bb.5:                                ;   in Loop: Header=BB0_2 Depth=1
	v_cvt_f32_u32_e32 v4, s18
	s_sub_i32 s20, 0, s18
	v_rcp_iflag_f32_e32 v4, v4
	v_mul_f32_e32 v4, 0x4f7ffffe, v4
	v_cvt_u32_f32_e32 v4, v4
	v_mul_lo_u32 v7, s20, v4
	v_mul_hi_u32 v7, v4, v7
	v_add_u32_e32 v4, v4, v7
	v_mul_hi_u32 v4, v5, v4
	v_mul_lo_u32 v7, v4, s18
	v_add_u32_e32 v8, 1, v4
	v_sub_u32_e32 v7, v5, v7
	v_subrev_u32_e32 v9, s18, v7
	v_cmp_le_u32_e32 vcc, s18, v7
	v_cndmask_b32_e32 v7, v7, v9, vcc
	v_cndmask_b32_e32 v4, v4, v8, vcc
	v_add_u32_e32 v8, 1, v4
	v_cmp_le_u32_e32 vcc, s18, v7
	v_cndmask_b32_e32 v7, v4, v8, vcc
	v_mov_b32_e32 v8, v3
.LBB0_6:                                ;   in Loop: Header=BB0_2 Depth=1
	s_or_b64 exec, exec, s[0:1]
	v_mul_lo_u32 v4, v8, s18
	v_mul_lo_u32 v11, v7, s19
	v_mad_u64_u32 v[9:10], s[0:1], v7, s18, 0
	s_load_dwordx2 s[0:1], s[6:7], 0x0
	s_add_u32 s16, s16, 1
	v_add3_u32 v4, v10, v11, v4
	v_sub_co_u32_e32 v5, vcc, v5, v9
	v_subb_co_u32_e32 v4, vcc, v6, v4, vcc
	s_waitcnt lgkmcnt(0)
	v_mul_lo_u32 v4, s0, v4
	v_mul_lo_u32 v6, s1, v5
	v_mad_u64_u32 v[1:2], s[0:1], s0, v5, v[1:2]
	s_addc_u32 s17, s17, 0
	s_add_u32 s6, s6, 8
	v_add3_u32 v2, v6, v2, v4
	v_mov_b32_e32 v4, s10
	v_mov_b32_e32 v5, s11
	s_addc_u32 s7, s7, 0
	v_cmp_ge_u64_e32 vcc, s[16:17], v[4:5]
	s_add_u32 s14, s14, 8
	s_addc_u32 s15, s15, 0
	s_cbranch_vccnz .LBB0_9
; %bb.7:                                ;   in Loop: Header=BB0_2 Depth=1
	v_mov_b32_e32 v5, v7
	v_mov_b32_e32 v6, v8
	s_branch .LBB0_2
.LBB0_8:
	v_mov_b32_e32 v8, v6
	v_mov_b32_e32 v7, v5
.LBB0_9:
	s_lshl_b64 s[0:1], s[10:11], 3
	s_add_u32 s0, s12, s0
	s_addc_u32 s1, s13, s1
	s_load_dwordx2 s[6:7], s[0:1], 0x0
	s_load_dwordx2 s[10:11], s[4:5], 0x20
                                        ; implicit-def: $vgpr22
	s_waitcnt lgkmcnt(0)
	v_mad_u64_u32 v[1:2], s[0:1], s6, v7, v[1:2]
	s_mov_b32 s0, 0x5d1745e
	v_mul_lo_u32 v3, s6, v8
	v_mul_lo_u32 v4, s7, v7
	v_mul_hi_u32 v5, v0, s0
	v_cmp_gt_u64_e64 s[0:1], s[10:11], v[7:8]
	v_cmp_le_u64_e32 vcc, s[10:11], v[7:8]
	v_add3_u32 v2, v4, v2, v3
	v_mul_u32_u24_e32 v3, 44, v5
	v_sub_u32_e32 v16, v0, v3
	v_add_u32_e32 v20, 44, v16
	s_and_saveexec_b64 s[4:5], vcc
	s_xor_b64 s[4:5], exec, s[4:5]
; %bb.10:
	v_add_u32_e32 v20, 44, v16
	v_add_u32_e32 v22, 0x58, v16
; %bb.11:
	s_or_saveexec_b64 s[4:5], s[4:5]
	v_lshlrev_b64 v[18:19], 4, v[1:2]
	v_lshl_add_u32 v24, v16, 4, 0
	s_xor_b64 exec, exec, s[4:5]
	s_cbranch_execz .LBB0_13
; %bb.12:
	v_mov_b32_e32 v17, 0
	v_mov_b32_e32 v0, s3
	v_add_co_u32_e32 v2, vcc, s2, v18
	v_addc_co_u32_e32 v3, vcc, v0, v19, vcc
	v_lshlrev_b64 v[0:1], 4, v[16:17]
	v_add_co_u32_e32 v21, vcc, v2, v0
	v_addc_co_u32_e32 v22, vcc, v3, v1, vcc
	v_add_co_u32_e32 v53, vcc, 0x1000, v21
	global_load_dwordx4 v[0:3], v[21:22], off
	global_load_dwordx4 v[4:7], v[21:22], off offset:704
	global_load_dwordx4 v[8:11], v[21:22], off offset:1408
	;; [unrolled: 1-line block ×3, first 2 shown]
	v_addc_co_u32_e32 v54, vcc, 0, v22, vcc
	global_load_dwordx4 v[25:28], v[21:22], off offset:2816
	global_load_dwordx4 v[29:32], v[21:22], off offset:3520
	;; [unrolled: 1-line block ×7, first 2 shown]
	v_add_u32_e32 v22, 0x58, v16
	s_waitcnt vmcnt(10)
	ds_write_b128 v24, v[0:3]
	s_waitcnt vmcnt(9)
	ds_write_b128 v24, v[4:7] offset:704
	s_waitcnt vmcnt(8)
	ds_write_b128 v24, v[8:11] offset:1408
	;; [unrolled: 2-line block ×10, first 2 shown]
.LBB0_13:
	s_or_b64 exec, exec, s[4:5]
	s_waitcnt lgkmcnt(0)
	; wave barrier
	s_waitcnt lgkmcnt(0)
	ds_read_b128 v[8:11], v24 offset:5808
	ds_read_b128 v[12:15], v24 offset:1936
	;; [unrolled: 1-line block ×4, first 2 shown]
	v_mad_u32_u24 v17, v16, 48, v24
	v_cmp_gt_u32_e32 vcc, 33, v16
	s_waitcnt lgkmcnt(2)
	v_add_f64 v[45:46], v[12:13], -v[8:9]
	v_add_f64 v[47:48], v[14:15], -v[10:11]
	ds_read_b128 v[8:11], v24 offset:3872
	ds_read_b128 v[25:28], v24
	ds_read_b128 v[29:32], v24 offset:704
	ds_read_b128 v[33:36], v24 offset:4576
	s_waitcnt lgkmcnt(2)
	v_add_f64 v[49:50], v[25:26], -v[8:9]
	v_add_f64 v[51:52], v[27:28], -v[10:11]
	s_waitcnt lgkmcnt(0)
	v_add_f64 v[57:58], v[29:30], -v[33:34]
	v_fma_f64 v[53:54], v[12:13], 2.0, -v[45:46]
	v_fma_f64 v[55:56], v[14:15], 2.0, -v[47:48]
	ds_read_b128 v[37:40], v24 offset:6512
	ds_read_b128 v[41:44], v24 offset:2640
	;; [unrolled: 1-line block ×4, first 2 shown]
	v_add_f64 v[59:60], v[31:32], -v[35:36]
	s_waitcnt lgkmcnt(0)
	v_add_f64 v[61:62], v[41:42], -v[37:38]
	v_add_f64 v[63:64], v[43:44], -v[39:40]
	v_fma_f64 v[65:66], v[29:30], 2.0, -v[57:58]
	v_add_f64 v[33:34], v[49:50], v[47:48]
	v_add_f64 v[35:36], v[51:52], -v[45:46]
	v_fma_f64 v[45:46], v[25:26], 2.0, -v[49:50]
	v_fma_f64 v[67:68], v[31:32], 2.0, -v[59:60]
	;; [unrolled: 1-line block ×5, first 2 shown]
	v_add_f64 v[41:42], v[57:58], v[63:64]
	v_add_f64 v[43:44], v[59:60], -v[61:62]
	v_fma_f64 v[25:26], v[49:50], 2.0, -v[33:34]
	v_add_f64 v[29:30], v[45:46], -v[53:54]
	v_fma_f64 v[27:28], v[51:52], 2.0, -v[35:36]
	v_add_f64 v[31:32], v[47:48], -v[55:56]
	v_add_f64 v[37:38], v[65:66], -v[37:38]
	;; [unrolled: 1-line block ×3, first 2 shown]
	v_fma_f64 v[53:54], v[57:58], 2.0, -v[41:42]
	v_fma_f64 v[55:56], v[59:60], 2.0, -v[43:44]
	; wave barrier
	v_fma_f64 v[45:46], v[45:46], 2.0, -v[29:30]
	v_fma_f64 v[47:48], v[47:48], 2.0, -v[31:32]
	;; [unrolled: 1-line block ×4, first 2 shown]
	ds_write_b128 v17, v[25:28] offset:16
	ds_write_b128 v17, v[33:36] offset:48
	;; [unrolled: 1-line block ×3, first 2 shown]
	ds_write_b128 v17, v[45:48]
	v_lshl_add_u32 v25, v20, 6, 0
	ds_write_b128 v25, v[49:52]
	ds_write_b128 v25, v[53:56] offset:16
	ds_write_b128 v25, v[37:40] offset:32
	;; [unrolled: 1-line block ×3, first 2 shown]
	s_and_saveexec_b64 s[4:5], vcc
	s_cbranch_execz .LBB0_15
; %bb.14:
	v_add_f64 v[26:27], v[2:3], -v[6:7]
	v_add_f64 v[6:7], v[10:11], -v[14:15]
	;; [unrolled: 1-line block ×4, first 2 shown]
	v_lshl_add_u32 v17, v22, 6, 0
	v_fma_f64 v[12:13], v[2:3], 2.0, -v[26:27]
	v_fma_f64 v[10:11], v[10:11], 2.0, -v[6:7]
	;; [unrolled: 1-line block ×4, first 2 shown]
	v_add_f64 v[2:3], v[26:27], -v[4:5]
	v_add_f64 v[0:1], v[14:15], v[6:7]
	v_add_f64 v[6:7], v[12:13], -v[10:11]
	v_add_f64 v[4:5], v[28:29], -v[8:9]
	v_fma_f64 v[10:11], v[26:27], 2.0, -v[2:3]
	v_fma_f64 v[8:9], v[14:15], 2.0, -v[0:1]
	;; [unrolled: 1-line block ×4, first 2 shown]
	ds_write_b128 v17, v[8:11] offset:16
	ds_write_b128 v17, v[4:7] offset:32
	ds_write_b128 v17, v[12:15]
	ds_write_b128 v17, v[0:3] offset:48
.LBB0_15:
	s_or_b64 exec, exec, s[4:5]
	v_and_b32_e32 v13, 3, v16
	v_mul_u32_u24_e32 v0, 10, v13
	v_lshlrev_b32_e32 v12, 4, v0
	s_waitcnt lgkmcnt(0)
	; wave barrier
	s_waitcnt lgkmcnt(0)
	global_load_dwordx4 v[0:3], v12, s[8:9]
	global_load_dwordx4 v[4:7], v12, s[8:9] offset:16
	global_load_dwordx4 v[8:11], v12, s[8:9] offset:32
	;; [unrolled: 1-line block ×9, first 2 shown]
	s_movk_i32 s24, 0xffd0
	v_mad_i32_i24 v14, v20, s24, v25
	ds_read_b128 v[54:57], v24 offset:2816
	ds_read_b128 v[58:61], v24 offset:3520
	;; [unrolled: 1-line block ×3, first 2 shown]
	ds_read_b128 v[66:69], v24
	ds_read_b128 v[70:73], v24 offset:4224
	ds_read_b128 v[74:77], v24 offset:4928
	;; [unrolled: 1-line block ×5, first 2 shown]
	ds_read_b128 v[90:93], v14
	v_lshl_add_u32 v12, v22, 4, 0
	ds_read_b128 v[94:97], v12
	s_mov_b32 s16, 0xf8bb580b
	s_mov_b32 s12, 0x8764f0ba
	;; [unrolled: 1-line block ×30, first 2 shown]
	v_lshrrev_b32_e32 v15, 2, v16
	v_mul_u32_u24_e32 v15, 44, v15
	v_or_b32_e32 v13, v15, v13
	v_lshl_add_u32 v13, v13, 4, 0
	s_waitcnt lgkmcnt(0)
	; wave barrier
	s_waitcnt lgkmcnt(0)
	v_cmp_ne_u32_e32 vcc, 0, v16
	s_waitcnt vmcnt(9)
	v_mul_f64 v[98:99], v[92:93], v[2:3]
	v_mul_f64 v[2:3], v[90:91], v[2:3]
	s_waitcnt vmcnt(8)
	v_mul_f64 v[100:101], v[96:97], v[6:7]
	v_mul_f64 v[6:7], v[94:95], v[6:7]
	;; [unrolled: 3-line block ×6, first 2 shown]
	v_fma_f64 v[90:91], v[90:91], v[0:1], v[98:99]
	v_fma_f64 v[0:1], v[92:93], v[0:1], -v[2:3]
	s_waitcnt vmcnt(2)
	v_mul_f64 v[2:3], v[80:81], v[44:45]
	v_mul_f64 v[44:45], v[78:79], v[44:45]
	s_waitcnt vmcnt(1)
	v_mul_f64 v[92:93], v[88:89], v[48:49]
	v_mul_f64 v[48:49], v[86:87], v[48:49]
	;; [unrolled: 1-line block ×4, first 2 shown]
	v_fma_f64 v[94:95], v[94:95], v[4:5], v[100:101]
	v_fma_f64 v[4:5], v[96:97], v[4:5], -v[6:7]
	v_fma_f64 v[54:55], v[54:55], v[26:27], v[104:105]
	v_fma_f64 v[26:27], v[56:57], v[26:27], -v[28:29]
	v_fma_f64 v[28:29], v[58:59], v[30:31], v[106:107]
	v_fma_f64 v[30:31], v[60:61], v[30:31], -v[32:33]
	v_fma_f64 v[32:33], v[70:71], v[34:35], v[108:109]
	v_fma_f64 v[34:35], v[72:73], v[34:35], -v[36:37]
	v_fma_f64 v[36:37], v[74:75], v[38:39], v[110:111]
	v_fma_f64 v[38:39], v[76:77], v[38:39], -v[40:41]
	v_fma_f64 v[40:41], v[88:89], v[46:47], -v[48:49]
	v_fma_f64 v[48:49], v[78:79], v[42:43], v[2:3]
	v_fma_f64 v[42:43], v[80:81], v[42:43], -v[44:45]
	v_add_f64 v[44:45], v[68:69], v[0:1]
	v_fma_f64 v[62:63], v[62:63], v[8:9], v[102:103]
	v_fma_f64 v[64:65], v[64:65], v[8:9], -v[10:11]
	v_add_f64 v[8:9], v[66:67], v[90:91]
	s_waitcnt vmcnt(0)
	v_mul_f64 v[6:7], v[84:85], v[52:53]
	v_mul_f64 v[52:53], v[82:83], v[52:53]
	v_fma_f64 v[46:47], v[86:87], v[46:47], v[92:93]
	v_add_f64 v[108:109], v[30:31], v[34:35]
	v_add_f64 v[44:45], v[44:45], v[4:5]
	;; [unrolled: 1-line block ×3, first 2 shown]
	v_fma_f64 v[2:3], v[84:85], v[50:51], -v[52:53]
	v_add_f64 v[52:53], v[0:1], -v[40:41]
	v_add_f64 v[0:1], v[0:1], v[40:41]
	v_add_f64 v[44:45], v[44:45], v[64:65]
	v_fma_f64 v[50:51], v[82:83], v[50:51], v[6:7]
	v_add_f64 v[56:57], v[90:91], v[46:47]
	v_add_f64 v[60:61], v[60:61], v[62:63]
	v_add_f64 v[58:59], v[90:91], -v[46:47]
	v_add_f64 v[10:11], v[4:5], -v[2:3]
	v_add_f64 v[8:9], v[4:5], v[2:3]
	v_mul_f64 v[70:71], v[52:53], s[16:17]
	v_add_f64 v[44:45], v[44:45], v[26:27]
	v_mul_f64 v[72:73], v[52:53], s[4:5]
	v_mul_f64 v[74:75], v[52:53], s[10:11]
	v_add_f64 v[60:61], v[60:61], v[54:55]
	v_mul_f64 v[76:77], v[52:53], s[18:19]
	v_mul_f64 v[52:53], v[52:53], s[22:23]
	v_mul_f64 v[78:79], v[0:1], s[12:13]
	v_mul_f64 v[80:81], v[0:1], s[6:7]
	v_add_f64 v[44:45], v[44:45], v[30:31]
	v_mul_f64 v[82:83], v[0:1], s[14:15]
	v_mul_f64 v[84:85], v[0:1], s[20:21]
	v_add_f64 v[60:61], v[60:61], v[28:29]
	v_mul_f64 v[0:1], v[0:1], s[28:29]
	v_add_f64 v[6:7], v[94:95], v[50:51]
	v_add_f64 v[4:5], v[94:95], -v[50:51]
	v_mul_f64 v[86:87], v[10:11], s[4:5]
	v_add_f64 v[44:45], v[44:45], v[34:35]
	v_mul_f64 v[88:89], v[8:9], s[6:7]
	v_fma_f64 v[90:91], v[56:57], s[12:13], v[70:71]
	v_add_f64 v[60:61], v[60:61], v[32:33]
	v_fma_f64 v[70:71], v[56:57], s[12:13], -v[70:71]
	v_fma_f64 v[92:93], v[56:57], s[6:7], v[72:73]
	v_fma_f64 v[72:73], v[56:57], s[6:7], -v[72:73]
	v_fma_f64 v[94:95], v[56:57], s[14:15], v[74:75]
	v_add_f64 v[44:45], v[44:45], v[38:39]
	v_fma_f64 v[74:75], v[56:57], s[14:15], -v[74:75]
	v_fma_f64 v[96:97], v[56:57], s[20:21], v[76:77]
	v_add_f64 v[60:61], v[60:61], v[36:37]
	v_fma_f64 v[76:77], v[56:57], s[20:21], -v[76:77]
	v_fma_f64 v[98:99], v[56:57], s[28:29], v[52:53]
	v_fma_f64 v[52:53], v[56:57], s[28:29], -v[52:53]
	v_fma_f64 v[56:57], v[58:59], s[30:31], v[78:79]
	v_add_f64 v[44:45], v[44:45], v[42:43]
	v_fma_f64 v[78:79], v[58:59], s[16:17], v[78:79]
	v_fma_f64 v[100:101], v[58:59], s[26:27], v[80:81]
	;; [unrolled: 1-line block ×9, first 2 shown]
	v_add_f64 v[0:1], v[60:61], v[48:49]
	v_add_f64 v[2:3], v[44:45], v[2:3]
	;; [unrolled: 1-line block ×12, first 2 shown]
	v_add_f64 v[96:97], v[64:65], -v[42:43]
	v_add_f64 v[64:65], v[64:65], v[42:43]
	v_fma_f64 v[40:41], v[6:7], s[6:7], v[86:87]
	v_fma_f64 v[42:43], v[4:5], s[26:27], v[88:89]
	v_add_f64 v[44:45], v[68:69], v[80:81]
	v_add_f64 v[80:81], v[68:69], v[102:103]
	;; [unrolled: 1-line block ×3, first 2 shown]
	v_add_f64 v[62:63], v[62:63], -v[48:49]
	v_mul_f64 v[48:49], v[96:97], s[10:11]
	v_mul_f64 v[102:103], v[64:65], s[14:15]
	v_add_f64 v[40:41], v[40:41], v[90:91]
	v_add_f64 v[42:43], v[42:43], v[56:57]
	v_add_f64 v[56:57], v[26:27], -v[38:39]
	v_add_f64 v[90:91], v[26:27], v[38:39]
	v_add_f64 v[72:73], v[66:67], v[72:73]
	;; [unrolled: 1-line block ×10, first 2 shown]
	v_fma_f64 v[26:27], v[100:101], s[14:15], v[48:49]
	v_fma_f64 v[38:39], v[62:63], s[24:25], v[102:103]
	v_add_f64 v[52:53], v[66:67], v[52:53]
	v_add_f64 v[58:59], v[68:69], v[58:59]
	;; [unrolled: 1-line block ×3, first 2 shown]
	v_add_f64 v[54:55], v[54:55], -v[36:37]
	v_mul_f64 v[36:37], v[56:57], s[18:19]
	v_mul_f64 v[68:69], v[90:91], s[20:21]
	v_add_f64 v[106:107], v[30:31], -v[34:35]
	v_add_f64 v[26:27], v[26:27], v[40:41]
	v_add_f64 v[38:39], v[38:39], v[42:43]
	v_fma_f64 v[30:31], v[6:7], s[6:7], -v[86:87]
	v_fma_f64 v[34:35], v[4:5], s[4:5], v[88:89]
	v_add_f64 v[86:87], v[28:29], v[32:33]
	v_fma_f64 v[40:41], v[66:67], s[20:21], v[36:37]
	v_fma_f64 v[42:43], v[54:55], s[34:35], v[68:69]
	v_add_f64 v[88:89], v[28:29], -v[32:33]
	v_mul_f64 v[32:33], v[106:107], s[22:23]
	v_mul_f64 v[110:111], v[108:109], s[28:29]
	v_add_f64 v[28:29], v[30:31], v[60:61]
	v_add_f64 v[30:31], v[34:35], v[70:71]
	v_fma_f64 v[34:35], v[100:101], s[14:15], -v[48:49]
	v_fma_f64 v[48:49], v[62:63], s[10:11], v[102:103]
	v_add_f64 v[26:27], v[40:41], v[26:27]
	v_add_f64 v[38:39], v[42:43], v[38:39]
	v_fma_f64 v[40:41], v[86:87], s[28:29], v[32:33]
	v_fma_f64 v[42:43], v[88:89], s[36:37], v[110:111]
	v_mul_f64 v[60:61], v[10:11], s[18:19]
	v_mul_f64 v[70:71], v[8:9], s[20:21]
	v_add_f64 v[34:35], v[34:35], v[28:29]
	v_add_f64 v[30:31], v[48:49], v[30:31]
	v_fma_f64 v[36:37], v[66:67], s[20:21], -v[36:37]
	v_fma_f64 v[48:49], v[54:55], s[18:19], v[68:69]
	v_add_f64 v[26:27], v[40:41], v[26:27]
	v_add_f64 v[28:29], v[42:43], v[38:39]
	v_fma_f64 v[38:39], v[6:7], s[20:21], v[60:61]
	v_fma_f64 v[40:41], v[4:5], s[34:35], v[70:71]
	;; [unrolled: 10-line block ×8, first 2 shown]
	v_mul_f64 v[78:79], v[106:107], s[18:19]
	v_mul_f64 v[80:81], v[108:109], s[20:21]
	v_add_f64 v[42:43], v[42:43], v[74:75]
	v_fma_f64 v[48:49], v[100:101], s[6:7], -v[48:49]
	v_mul_f64 v[74:75], v[8:9], s[14:15]
	v_add_f64 v[44:45], v[44:45], v[82:83]
	v_add_f64 v[50:51], v[70:71], v[50:51]
	;; [unrolled: 1-line block ×3, first 2 shown]
	v_fma_f64 v[70:71], v[86:87], s[20:21], v[78:79]
	v_mul_f64 v[72:73], v[10:11], s[24:25]
	v_fma_f64 v[60:61], v[62:63], s[26:27], v[60:61]
	v_fma_f64 v[82:83], v[88:89], s[34:35], v[80:81]
	v_add_f64 v[48:49], v[48:49], v[42:43]
	v_fma_f64 v[92:93], v[66:67], s[12:13], -v[110:111]
	v_fma_f64 v[102:103], v[54:55], s[16:17], v[112:113]
	v_mul_f64 v[110:111], v[96:97], s[16:17]
	v_add_f64 v[42:43], v[70:71], v[50:51]
	v_fma_f64 v[50:51], v[6:7], s[14:15], v[72:73]
	v_fma_f64 v[70:71], v[4:5], s[10:11], v[74:75]
	v_mul_f64 v[112:113], v[64:65], s[12:13]
	v_add_f64 v[60:61], v[60:61], v[44:45]
	v_add_f64 v[44:45], v[82:83], v[68:69]
	;; [unrolled: 1-line block ×3, first 2 shown]
	v_fma_f64 v[68:69], v[86:87], s[20:21], -v[78:79]
	v_fma_f64 v[78:79], v[100:101], s[12:13], v[110:111]
	v_add_f64 v[50:51], v[50:51], v[94:95]
	v_add_f64 v[70:71], v[70:71], v[46:47]
	v_fma_f64 v[82:83], v[62:63], s[30:31], v[112:113]
	v_mul_f64 v[92:93], v[56:57], s[22:23]
	v_fma_f64 v[72:73], v[6:7], s[14:15], -v[72:73]
	v_add_f64 v[60:61], v[102:103], v[60:61]
	v_fma_f64 v[80:81], v[88:89], s[18:19], v[80:81]
	v_add_f64 v[46:47], v[68:69], v[48:49]
	v_add_f64 v[50:51], v[78:79], v[50:51]
	v_mul_f64 v[10:11], v[10:11], s[30:31]
	v_add_f64 v[68:69], v[82:83], v[70:71]
	v_fma_f64 v[70:71], v[66:67], s[28:29], v[92:93]
	v_mul_f64 v[94:95], v[90:91], s[28:29]
	v_fma_f64 v[74:75], v[4:5], s[24:25], v[74:75]
	v_add_f64 v[72:73], v[72:73], v[76:77]
	v_fma_f64 v[76:77], v[100:101], s[12:13], -v[110:111]
	v_mul_f64 v[8:9], v[8:9], s[12:13]
	v_add_f64 v[48:49], v[80:81], v[60:61]
	v_fma_f64 v[60:61], v[6:7], s[12:13], v[10:11]
	v_add_f64 v[50:51], v[70:71], v[50:51]
	v_mul_f64 v[70:71], v[96:97], s[18:19]
	v_fma_f64 v[6:7], v[6:7], s[12:13], -v[10:11]
	v_fma_f64 v[78:79], v[54:55], s[36:37], v[94:95]
	v_add_f64 v[74:75], v[74:75], v[84:85]
	v_fma_f64 v[82:83], v[62:63], s[16:17], v[112:113]
	v_add_f64 v[72:73], v[76:77], v[72:73]
	v_fma_f64 v[76:77], v[4:5], s[16:17], v[8:9]
	v_mul_f64 v[64:65], v[64:65], s[20:21]
	v_fma_f64 v[4:5], v[4:5], s[30:31], v[8:9]
	v_add_f64 v[60:61], v[60:61], v[98:99]
	v_fma_f64 v[80:81], v[100:101], s[20:21], v[70:71]
	v_mul_f64 v[56:57], v[56:57], s[26:27]
	v_add_f64 v[6:7], v[6:7], v[52:53]
	v_fma_f64 v[52:53], v[100:101], s[20:21], -v[70:71]
	v_add_f64 v[68:69], v[78:79], v[68:69]
	v_add_f64 v[74:75], v[82:83], v[74:75]
	v_fma_f64 v[78:79], v[66:67], s[28:29], -v[92:93]
	v_add_f64 v[76:77], v[76:77], v[104:105]
	v_fma_f64 v[82:83], v[62:63], s[34:35], v[64:65]
	v_mul_f64 v[8:9], v[90:91], s[6:7]
	v_add_f64 v[4:5], v[4:5], v[58:59]
	v_fma_f64 v[62:63], v[62:63], s[18:19], v[64:65]
	v_add_f64 v[60:61], v[80:81], v[60:61]
	v_fma_f64 v[80:81], v[66:67], s[6:7], v[56:57]
	v_add_f64 v[6:7], v[52:53], v[6:7]
	v_mul_f64 v[52:53], v[106:107], s[26:27]
	v_fma_f64 v[56:57], v[66:67], s[6:7], -v[56:57]
	v_mul_f64 v[64:65], v[108:109], s[6:7]
	v_fma_f64 v[10:11], v[54:55], s[22:23], v[94:95]
	v_add_f64 v[70:71], v[78:79], v[72:73]
	v_add_f64 v[72:73], v[82:83], v[76:77]
	v_fma_f64 v[58:59], v[54:55], s[4:5], v[8:9]
	v_add_f64 v[4:5], v[62:63], v[4:5]
	v_fma_f64 v[8:9], v[54:55], s[26:27], v[8:9]
	v_mul_f64 v[54:55], v[106:107], s[10:11]
	v_mul_f64 v[62:63], v[108:109], s[14:15]
	v_fma_f64 v[66:67], v[86:87], s[6:7], v[52:53]
	v_add_f64 v[56:57], v[56:57], v[6:7]
	v_fma_f64 v[6:7], v[88:89], s[4:5], v[64:65]
	v_add_f64 v[10:11], v[10:11], v[74:75]
	v_add_f64 v[60:61], v[80:81], v[60:61]
	;; [unrolled: 1-line block ×3, first 2 shown]
	v_fma_f64 v[52:53], v[86:87], s[6:7], -v[52:53]
	v_fma_f64 v[74:75], v[86:87], s[14:15], v[54:55]
	v_fma_f64 v[76:77], v[88:89], s[24:25], v[62:63]
	v_add_f64 v[72:73], v[8:9], v[4:5]
	v_fma_f64 v[54:55], v[86:87], s[14:15], -v[54:55]
	v_fma_f64 v[62:63], v[88:89], s[10:11], v[62:63]
	v_fma_f64 v[64:65], v[88:89], s[26:27], v[64:65]
	v_add_f64 v[4:5], v[66:67], v[50:51]
	v_add_f64 v[6:7], v[6:7], v[68:69]
	;; [unrolled: 1-line block ×8, first 2 shown]
	ds_write_b128 v13, v[0:3]
	ds_write_b128 v13, v[26:29] offset:64
	ds_write_b128 v13, v[34:37] offset:128
	;; [unrolled: 1-line block ×10, first 2 shown]
	v_mul_u32_u24_e32 v0, 10, v16
	v_lshlrev_b32_e32 v13, 4, v0
	s_waitcnt lgkmcnt(0)
	; wave barrier
	s_waitcnt lgkmcnt(0)
	global_load_dwordx4 v[0:3], v13, s[8:9] offset:640
	global_load_dwordx4 v[4:7], v13, s[8:9] offset:656
	;; [unrolled: 1-line block ×10, first 2 shown]
	ds_read_b128 v[54:57], v14
	ds_read_b128 v[58:61], v12
	ds_read_b128 v[62:65], v24 offset:2112
	s_waitcnt vmcnt(9) lgkmcnt(2)
	v_mul_f64 v[13:14], v[56:57], v[2:3]
	v_mul_f64 v[2:3], v[54:55], v[2:3]
	s_waitcnt vmcnt(8) lgkmcnt(1)
	v_mul_f64 v[66:67], v[60:61], v[6:7]
	v_mul_f64 v[6:7], v[58:59], v[6:7]
	v_fma_f64 v[13:14], v[54:55], v[0:1], v[13:14]
	v_fma_f64 v[68:69], v[56:57], v[0:1], -v[2:3]
	ds_read_b128 v[54:57], v24
	s_waitcnt vmcnt(7) lgkmcnt(1)
	v_mul_f64 v[70:71], v[64:65], v[10:11]
	v_mul_f64 v[10:11], v[62:63], v[10:11]
	v_fma_f64 v[58:59], v[58:59], v[4:5], v[66:67]
	v_fma_f64 v[60:61], v[60:61], v[4:5], -v[6:7]
	ds_read_b128 v[0:3], v24 offset:2816
	ds_read_b128 v[4:7], v24 offset:3520
	s_waitcnt lgkmcnt(2)
	v_add_f64 v[66:67], v[54:55], v[13:14]
	v_add_f64 v[72:73], v[56:57], v[68:69]
	v_fma_f64 v[62:63], v[62:63], v[8:9], v[70:71]
	s_waitcnt vmcnt(6) lgkmcnt(1)
	v_mul_f64 v[74:75], v[2:3], v[28:29]
	v_mul_f64 v[28:29], v[0:1], v[28:29]
	v_fma_f64 v[64:65], v[64:65], v[8:9], -v[10:11]
	v_add_f64 v[66:67], v[66:67], v[58:59]
	v_add_f64 v[8:9], v[72:73], v[60:61]
	v_fma_f64 v[70:71], v[0:1], v[26:27], v[74:75]
	v_fma_f64 v[26:27], v[2:3], v[26:27], -v[28:29]
	s_waitcnt vmcnt(5) lgkmcnt(0)
	v_mul_f64 v[28:29], v[6:7], v[32:33]
	v_mul_f64 v[32:33], v[4:5], v[32:33]
	ds_read_b128 v[0:3], v24 offset:4224
	v_add_f64 v[66:67], v[66:67], v[62:63]
	v_add_f64 v[72:73], v[8:9], v[64:65]
	ds_read_b128 v[8:11], v24 offset:4928
	s_waitcnt vmcnt(4) lgkmcnt(1)
	v_mul_f64 v[74:75], v[2:3], v[36:37]
	v_mul_f64 v[36:37], v[0:1], v[36:37]
	v_fma_f64 v[28:29], v[4:5], v[30:31], v[28:29]
	v_fma_f64 v[30:31], v[6:7], v[30:31], -v[32:33]
	v_add_f64 v[4:5], v[66:67], v[70:71]
	v_add_f64 v[6:7], v[72:73], v[26:27]
	v_fma_f64 v[32:33], v[0:1], v[34:35], v[74:75]
	v_fma_f64 v[34:35], v[2:3], v[34:35], -v[36:37]
	s_waitcnt vmcnt(3) lgkmcnt(0)
	v_mul_f64 v[36:37], v[10:11], v[40:41]
	v_mul_f64 v[40:41], v[8:9], v[40:41]
	v_add_f64 v[66:67], v[4:5], v[28:29]
	v_add_f64 v[72:73], v[6:7], v[30:31]
	ds_read_b128 v[0:3], v24 offset:5632
	ds_read_b128 v[4:7], v24 offset:6336
	v_add_f64 v[112:113], v[28:29], v[32:33]
	v_add_f64 v[110:111], v[30:31], v[34:35]
	v_fma_f64 v[36:37], v[8:9], v[38:39], v[36:37]
	s_waitcnt vmcnt(2) lgkmcnt(1)
	v_mul_f64 v[74:75], v[2:3], v[44:45]
	v_mul_f64 v[44:45], v[0:1], v[44:45]
	v_add_f64 v[66:67], v[66:67], v[32:33]
	v_fma_f64 v[38:39], v[10:11], v[38:39], -v[40:41]
	v_add_f64 v[40:41], v[72:73], v[34:35]
	ds_read_b128 v[8:11], v24 offset:7040
	s_waitcnt lgkmcnt(0)
	v_add_f64 v[108:109], v[70:71], v[36:37]
	v_fma_f64 v[72:73], v[0:1], v[42:43], v[74:75]
	s_waitcnt vmcnt(1)
	v_mul_f64 v[0:1], v[6:7], v[48:49]
	v_fma_f64 v[42:43], v[2:3], v[42:43], -v[44:45]
	v_add_f64 v[2:3], v[66:67], v[36:37]
	v_mul_f64 v[44:45], v[4:5], v[48:49]
	v_add_f64 v[40:41], v[40:41], v[38:39]
	s_waitcnt vmcnt(0)
	v_mul_f64 v[48:49], v[8:9], v[52:53]
	v_add_f64 v[106:107], v[26:27], v[38:39]
	v_add_f64 v[100:101], v[62:63], v[72:73]
	v_fma_f64 v[4:5], v[4:5], v[46:47], v[0:1]
	v_mul_f64 v[0:1], v[10:11], v[52:53]
	v_add_f64 v[2:3], v[2:3], v[72:73]
	v_fma_f64 v[6:7], v[6:7], v[46:47], -v[44:45]
	v_add_f64 v[40:41], v[40:41], v[42:43]
	v_fma_f64 v[10:11], v[10:11], v[50:51], -v[48:49]
	v_add_f64 v[98:99], v[64:65], -v[42:43]
	v_add_f64 v[42:43], v[64:65], v[42:43]
	v_add_f64 v[94:95], v[58:59], v[4:5]
	v_fma_f64 v[8:9], v[8:9], v[50:51], v[0:1]
	v_add_f64 v[0:1], v[2:3], v[4:5]
	v_add_f64 v[58:59], v[58:59], -v[4:5]
	v_add_f64 v[2:3], v[40:41], v[6:7]
	v_add_f64 v[44:45], v[68:69], -v[10:11]
	v_mul_f64 v[102:103], v[98:99], s[10:11]
	v_add_f64 v[62:63], v[62:63], -v[72:73]
	v_mul_f64 v[104:105], v[42:43], s[14:15]
	v_add_f64 v[40:41], v[13:14], v[8:9]
	v_add_f64 v[0:1], v[0:1], v[8:9]
	v_add_f64 v[8:9], v[13:14], -v[8:9]
	v_add_f64 v[2:3], v[2:3], v[10:11]
	v_add_f64 v[10:11], v[68:69], v[10:11]
	v_mul_f64 v[46:47], v[44:45], s[16:17]
	v_mul_f64 v[48:49], v[44:45], s[4:5]
	;; [unrolled: 1-line block ×5, first 2 shown]
	v_fma_f64 v[72:73], v[100:101], s[14:15], v[102:103]
	v_add_f64 v[70:71], v[70:71], -v[36:37]
	v_mul_f64 v[76:77], v[10:11], s[12:13]
	v_fma_f64 v[52:53], v[40:41], s[12:13], v[46:47]
	v_fma_f64 v[46:47], v[40:41], s[12:13], -v[46:47]
	v_fma_f64 v[66:67], v[40:41], s[6:7], v[48:49]
	v_fma_f64 v[48:49], v[40:41], s[6:7], -v[48:49]
	;; [unrolled: 2-line block ×4, first 2 shown]
	v_mul_f64 v[78:79], v[10:11], s[6:7]
	v_fma_f64 v[80:81], v[40:41], s[28:29], v[44:45]
	v_mul_f64 v[82:83], v[10:11], s[14:15]
	v_fma_f64 v[40:41], v[40:41], s[28:29], -v[44:45]
	v_mul_f64 v[44:45], v[10:11], s[20:21]
	v_mul_f64 v[10:11], v[10:11], s[28:29]
	v_fma_f64 v[84:85], v[8:9], s[30:31], v[76:77]
	v_fma_f64 v[76:77], v[8:9], s[16:17], v[76:77]
	;; [unrolled: 1-line block ×10, first 2 shown]
	v_add_f64 v[10:11], v[54:55], v[52:53]
	v_add_f64 v[52:53], v[56:57], v[84:85]
	v_add_f64 v[84:85], v[60:61], -v[6:7]
	v_add_f64 v[60:61], v[60:61], v[6:7]
	v_add_f64 v[64:65], v[54:55], v[80:81]
	v_add_f64 v[80:81], v[26:27], -v[38:39]
	v_fma_f64 v[38:39], v[62:63], s[24:25], v[104:105]
	v_mul_f64 v[36:37], v[106:107], s[20:21]
	v_add_f64 v[46:47], v[54:55], v[46:47]
	v_add_f64 v[76:77], v[56:57], v[76:77]
	v_mul_f64 v[96:97], v[84:85], s[4:5]
	v_mul_f64 v[6:7], v[60:61], s[6:7]
	v_add_f64 v[66:67], v[54:55], v[66:67]
	v_mul_f64 v[26:27], v[80:81], s[18:19]
	v_add_f64 v[86:87], v[56:57], v[86:87]
	v_add_f64 v[48:49], v[54:55], v[48:49]
	;; [unrolled: 1-line block ×4, first 2 shown]
	v_fma_f64 v[4:5], v[94:95], s[6:7], v[96:97]
	v_add_f64 v[88:89], v[56:57], v[88:89]
	v_add_f64 v[50:51], v[54:55], v[50:51]
	;; [unrolled: 1-line block ×8, first 2 shown]
	v_fma_f64 v[10:11], v[58:59], s[26:27], v[6:7]
	v_fma_f64 v[6:7], v[58:59], s[4:5], v[6:7]
	v_add_f64 v[92:93], v[56:57], v[92:93]
	v_add_f64 v[54:55], v[54:55], v[40:41]
	v_add_f64 v[56:57], v[56:57], v[8:9]
	v_mul_f64 v[40:41], v[84:85], s[18:19]
	; wave barrier
	v_add_f64 v[4:5], v[72:73], v[4:5]
	v_add_f64 v[10:11], v[10:11], v[52:53]
	v_add_f64 v[52:53], v[30:31], -v[34:35]
	v_fma_f64 v[72:73], v[108:109], s[20:21], v[26:27]
	v_fma_f64 v[34:35], v[94:95], s[6:7], -v[96:97]
	v_add_f64 v[96:97], v[28:29], -v[32:33]
	v_mul_f64 v[28:29], v[110:111], s[28:29]
	v_fma_f64 v[26:27], v[108:109], s[20:21], -v[26:27]
	v_add_f64 v[10:11], v[38:39], v[10:11]
	v_mul_f64 v[30:31], v[52:53], s[22:23]
	v_fma_f64 v[38:39], v[70:71], s[34:35], v[36:37]
	v_add_f64 v[4:5], v[72:73], v[4:5]
	v_add_f64 v[8:9], v[34:35], v[46:47]
	v_fma_f64 v[34:35], v[100:101], s[14:15], -v[102:103]
	v_add_f64 v[46:47], v[6:7], v[76:77]
	v_fma_f64 v[72:73], v[62:63], s[10:11], v[104:105]
	v_mul_f64 v[76:77], v[42:43], s[28:29]
	v_fma_f64 v[32:33], v[112:113], s[28:29], v[30:31]
	v_add_f64 v[10:11], v[38:39], v[10:11]
	v_fma_f64 v[38:39], v[96:97], s[36:37], v[28:29]
	v_fma_f64 v[36:37], v[70:71], s[18:19], v[36:37]
	v_add_f64 v[8:9], v[34:35], v[8:9]
	v_mul_f64 v[34:35], v[98:99], s[36:37]
	v_add_f64 v[46:47], v[72:73], v[46:47]
	v_mul_f64 v[72:73], v[80:81], s[24:25]
	;; [unrolled: 2-line block ×3, first 2 shown]
	v_add_f64 v[6:7], v[38:39], v[10:11]
	v_fma_f64 v[10:11], v[94:95], s[20:21], v[40:41]
	v_add_f64 v[8:9], v[26:27], v[8:9]
	v_fma_f64 v[26:27], v[112:113], s[28:29], -v[30:31]
	v_fma_f64 v[30:31], v[100:101], s[28:29], v[34:35]
	v_add_f64 v[36:37], v[36:37], v[46:47]
	v_fma_f64 v[28:29], v[96:97], s[22:23], v[28:29]
	v_fma_f64 v[38:39], v[58:59], s[34:35], v[32:33]
	v_mul_f64 v[46:47], v[106:107], s[14:15]
	v_add_f64 v[10:11], v[10:11], v[66:67]
	v_fma_f64 v[66:67], v[62:63], s[22:23], v[76:77]
	v_add_f64 v[8:9], v[26:27], v[8:9]
	v_fma_f64 v[34:35], v[100:101], s[28:29], -v[34:35]
	v_add_f64 v[38:39], v[38:39], v[86:87]
	v_fma_f64 v[86:87], v[70:71], s[10:11], v[46:47]
	v_add_f64 v[26:27], v[30:31], v[10:11]
	v_fma_f64 v[30:31], v[94:95], s[20:21], -v[40:41]
	v_fma_f64 v[40:41], v[108:109], s[14:15], v[72:73]
	v_add_f64 v[10:11], v[28:29], v[36:37]
	v_fma_f64 v[28:29], v[58:59], s[18:19], v[32:33]
	v_mul_f64 v[32:33], v[110:111], s[12:13]
	v_add_f64 v[38:39], v[66:67], v[38:39]
	v_mul_f64 v[66:67], v[52:53], s[30:31]
	v_fma_f64 v[46:47], v[70:71], s[24:25], v[46:47]
	v_add_f64 v[30:31], v[30:31], v[48:49]
	v_add_f64 v[26:27], v[40:41], v[26:27]
	v_mul_f64 v[40:41], v[84:85], s[36:37]
	v_add_f64 v[28:29], v[28:29], v[78:79]
	v_fma_f64 v[48:49], v[62:63], s[36:37], v[76:77]
	v_add_f64 v[38:39], v[86:87], v[38:39]
	v_fma_f64 v[36:37], v[112:113], s[12:13], v[66:67]
	v_fma_f64 v[76:77], v[96:97], s[16:17], v[32:33]
	v_add_f64 v[30:31], v[34:35], v[30:31]
	v_fma_f64 v[34:35], v[108:109], s[14:15], -v[72:73]
	v_fma_f64 v[72:73], v[94:95], s[28:29], v[40:41]
	v_mul_f64 v[78:79], v[98:99], s[26:27]
	v_add_f64 v[48:49], v[48:49], v[28:29]
	v_fma_f64 v[32:33], v[96:97], s[30:31], v[32:33]
	v_add_f64 v[26:27], v[36:37], v[26:27]
	v_mul_f64 v[36:37], v[60:61], s[28:29]
	v_add_f64 v[28:29], v[76:77], v[38:39]
	v_add_f64 v[30:31], v[34:35], v[30:31]
	v_fma_f64 v[34:35], v[112:113], s[12:13], -v[66:67]
	v_add_f64 v[66:67], v[72:73], v[68:69]
	v_fma_f64 v[68:69], v[100:101], s[6:7], v[78:79]
	v_mul_f64 v[72:73], v[42:43], s[6:7]
	v_add_f64 v[46:47], v[46:47], v[48:49]
	v_fma_f64 v[38:39], v[58:59], s[22:23], v[36:37]
	v_mul_f64 v[48:49], v[80:81], s[16:17]
	v_mul_f64 v[86:87], v[52:53], s[18:19]
	v_add_f64 v[30:31], v[34:35], v[30:31]
	v_fma_f64 v[36:37], v[58:59], s[36:37], v[36:37]
	v_add_f64 v[32:33], v[32:33], v[46:47]
	v_add_f64 v[34:35], v[38:39], v[88:89]
	v_fma_f64 v[38:39], v[94:95], s[28:29], -v[40:41]
	v_add_f64 v[40:41], v[68:69], v[66:67]
	v_fma_f64 v[66:67], v[62:63], s[4:5], v[72:73]
	v_mul_f64 v[68:69], v[106:107], s[12:13]
	v_fma_f64 v[76:77], v[108:109], s[12:13], v[48:49]
	v_fma_f64 v[46:47], v[100:101], s[6:7], -v[78:79]
	v_add_f64 v[36:37], v[36:37], v[82:83]
	v_fma_f64 v[72:73], v[62:63], s[26:27], v[72:73]
	v_add_f64 v[38:39], v[38:39], v[50:51]
	v_mul_f64 v[82:83], v[98:99], s[16:17]
	v_add_f64 v[34:35], v[66:67], v[34:35]
	v_fma_f64 v[50:51], v[70:71], s[30:31], v[68:69]
	v_add_f64 v[40:41], v[76:77], v[40:41]
	v_fma_f64 v[66:67], v[112:113], s[20:21], v[86:87]
	v_mul_f64 v[76:77], v[110:111], s[20:21]
	v_add_f64 v[72:73], v[72:73], v[36:37]
	v_add_f64 v[38:39], v[46:47], v[38:39]
	v_fma_f64 v[46:47], v[108:109], s[12:13], -v[48:49]
	v_fma_f64 v[68:69], v[70:71], s[16:17], v[68:69]
	v_add_f64 v[48:49], v[50:51], v[34:35]
	v_mul_f64 v[50:51], v[84:85], s[24:25]
	v_add_f64 v[34:35], v[66:67], v[40:41]
	v_mul_f64 v[66:67], v[60:61], s[14:15]
	v_fma_f64 v[40:41], v[96:97], s[34:35], v[76:77]
	v_mul_f64 v[88:89], v[42:43], s[12:13]
	v_add_f64 v[38:39], v[46:47], v[38:39]
	v_fma_f64 v[46:47], v[112:113], s[20:21], -v[86:87]
	v_mul_f64 v[60:61], v[60:61], s[12:13]
	v_fma_f64 v[78:79], v[94:95], s[14:15], v[50:51]
	v_fma_f64 v[50:51], v[94:95], s[14:15], -v[50:51]
	v_fma_f64 v[86:87], v[58:59], s[10:11], v[66:67]
	v_add_f64 v[36:37], v[40:41], v[48:49]
	v_add_f64 v[40:41], v[68:69], v[72:73]
	v_fma_f64 v[48:49], v[96:97], s[18:19], v[76:77]
	v_add_f64 v[38:39], v[46:47], v[38:39]
	v_fma_f64 v[68:69], v[100:101], s[12:13], v[82:83]
	;; [unrolled: 2-line block ×3, first 2 shown]
	v_add_f64 v[72:73], v[86:87], v[90:91]
	v_mul_f64 v[76:77], v[80:81], s[22:23]
	v_mul_f64 v[78:79], v[106:107], s[28:29]
	v_add_f64 v[40:41], v[48:49], v[40:41]
	v_fma_f64 v[48:49], v[58:59], s[24:25], v[66:67]
	v_mul_f64 v[66:67], v[84:85], s[30:31]
	v_add_f64 v[46:47], v[68:69], v[46:47]
	v_add_f64 v[13:14], v[50:51], v[13:14]
	;; [unrolled: 1-line block ×3, first 2 shown]
	v_fma_f64 v[72:73], v[108:109], s[28:29], v[76:77]
	v_fma_f64 v[74:75], v[70:71], s[36:37], v[78:79]
	v_fma_f64 v[50:51], v[100:101], s[12:13], -v[82:83]
	v_add_f64 v[44:45], v[48:49], v[44:45]
	v_fma_f64 v[48:49], v[62:63], s[16:17], v[88:89]
	v_fma_f64 v[82:83], v[94:95], s[12:13], v[66:67]
	v_mul_f64 v[84:85], v[98:99], s[18:19]
	v_mul_f64 v[42:43], v[42:43], s[20:21]
	v_add_f64 v[46:47], v[72:73], v[46:47]
	v_add_f64 v[68:69], v[74:75], v[68:69]
	v_add_f64 v[13:14], v[50:51], v[13:14]
	v_fma_f64 v[50:51], v[108:109], s[28:29], -v[76:77]
	v_add_f64 v[44:45], v[48:49], v[44:45]
	v_add_f64 v[48:49], v[82:83], v[64:65]
	v_fma_f64 v[64:65], v[58:59], s[16:17], v[60:61]
	v_fma_f64 v[72:73], v[100:101], s[20:21], v[84:85]
	v_mul_f64 v[74:75], v[80:81], s[26:27]
	v_fma_f64 v[66:67], v[94:95], s[12:13], -v[66:67]
	v_fma_f64 v[58:59], v[58:59], s[30:31], v[60:61]
	v_add_f64 v[13:14], v[50:51], v[13:14]
	v_fma_f64 v[50:51], v[70:71], s[22:23], v[78:79]
	v_mul_f64 v[76:77], v[106:107], s[6:7]
	v_add_f64 v[60:61], v[64:65], v[92:93]
	v_add_f64 v[48:49], v[72:73], v[48:49]
	v_fma_f64 v[64:65], v[62:63], s[34:35], v[42:43]
	v_fma_f64 v[72:73], v[108:109], s[6:7], v[74:75]
	v_add_f64 v[54:55], v[66:67], v[54:55]
	v_fma_f64 v[66:67], v[100:101], s[20:21], -v[84:85]
	v_add_f64 v[56:57], v[58:59], v[56:57]
	v_fma_f64 v[42:43], v[62:63], s[18:19], v[42:43]
	v_add_f64 v[50:51], v[50:51], v[44:45]
	v_mul_f64 v[62:63], v[110:111], s[6:7]
	v_add_f64 v[44:45], v[64:65], v[60:61]
	v_add_f64 v[58:59], v[72:73], v[48:49]
	v_mul_f64 v[48:49], v[52:53], s[26:27]
	v_fma_f64 v[60:61], v[70:71], s[4:5], v[76:77]
	v_add_f64 v[54:55], v[66:67], v[54:55]
	v_add_f64 v[42:43], v[42:43], v[56:57]
	v_fma_f64 v[56:57], v[108:109], s[6:7], -v[74:75]
	v_mul_f64 v[52:53], v[52:53], s[10:11]
	v_fma_f64 v[64:65], v[70:71], s[26:27], v[76:77]
	v_mul_f64 v[70:71], v[110:111], s[14:15]
	v_fma_f64 v[66:67], v[112:113], s[6:7], v[48:49]
	v_add_f64 v[60:61], v[60:61], v[44:45]
	v_fma_f64 v[44:45], v[96:97], s[4:5], v[62:63]
	v_fma_f64 v[48:49], v[112:113], s[6:7], -v[48:49]
	v_fma_f64 v[62:63], v[96:97], s[26:27], v[62:63]
	v_add_f64 v[54:55], v[56:57], v[54:55]
	v_fma_f64 v[56:57], v[112:113], s[14:15], v[52:53]
	v_fma_f64 v[72:73], v[96:97], s[24:25], v[70:71]
	v_add_f64 v[64:65], v[64:65], v[42:43]
	v_fma_f64 v[74:75], v[112:113], s[14:15], -v[52:53]
	v_fma_f64 v[70:71], v[96:97], s[10:11], v[70:71]
	v_add_f64 v[42:43], v[66:67], v[46:47]
	v_add_f64 v[44:45], v[44:45], v[68:69]
	;; [unrolled: 1-line block ×8, first 2 shown]
	ds_write_b128 v24, v[0:3]
	ds_write_b128 v24, v[4:7] offset:704
	ds_write_b128 v24, v[26:29] offset:1408
	;; [unrolled: 1-line block ×10, first 2 shown]
	s_waitcnt lgkmcnt(0)
	; wave barrier
	s_waitcnt lgkmcnt(0)
	ds_read_b128 v[4:7], v24
	s_add_u32 s6, s8, 0x1e00
	v_lshlrev_b32_e32 v0, 4, v16
	s_addc_u32 s7, s9, 0
	v_sub_u32_e32 v13, 0, v0
                                        ; implicit-def: $vgpr2_vgpr3
                                        ; implicit-def: $vgpr10_vgpr11
                                        ; implicit-def: $vgpr8_vgpr9
	s_and_saveexec_b64 s[4:5], vcc
	s_xor_b64 s[4:5], exec, s[4:5]
	s_cbranch_execz .LBB0_17
; %bb.16:
	v_mov_b32_e32 v17, 0
	v_lshlrev_b64 v[0:1], 4, v[16:17]
	v_mov_b32_e32 v2, s7
	v_add_co_u32_e32 v0, vcc, s6, v0
	v_addc_co_u32_e32 v1, vcc, v2, v1, vcc
	global_load_dwordx4 v[0:3], v[0:1], off
	ds_read_b128 v[8:11], v13 offset:7744
	s_waitcnt lgkmcnt(0)
	v_add_f64 v[14:15], v[4:5], -v[8:9]
	v_add_f64 v[26:27], v[6:7], v[10:11]
	v_add_f64 v[6:7], v[6:7], -v[10:11]
	v_add_f64 v[4:5], v[4:5], v[8:9]
	v_mul_f64 v[14:15], v[14:15], 0.5
	v_mul_f64 v[8:9], v[26:27], 0.5
	;; [unrolled: 1-line block ×3, first 2 shown]
	s_waitcnt vmcnt(0)
	v_mul_f64 v[10:11], v[14:15], v[2:3]
	v_fma_f64 v[26:27], v[8:9], v[2:3], v[6:7]
	v_fma_f64 v[2:3], v[8:9], v[2:3], -v[6:7]
	v_fma_f64 v[28:29], v[4:5], 0.5, v[10:11]
	v_fma_f64 v[4:5], v[4:5], 0.5, -v[10:11]
	v_fma_f64 v[10:11], -v[0:1], v[14:15], v[26:27]
	v_fma_f64 v[2:3], -v[0:1], v[14:15], v[2:3]
	v_fma_f64 v[6:7], v[8:9], v[0:1], v[28:29]
	v_fma_f64 v[0:1], -v[8:9], v[0:1], v[4:5]
	v_mov_b32_e32 v8, v16
	v_mov_b32_e32 v9, v17
                                        ; implicit-def: $vgpr4_vgpr5
	ds_write_b64 v24, v[6:7]
.LBB0_17:
	s_or_saveexec_b64 s[4:5], s[4:5]
	v_mul_i32_i24_e32 v14, 0xffffffd0, v20
	s_xor_b64 exec, exec, s[4:5]
	s_cbranch_execz .LBB0_19
; %bb.18:
	s_waitcnt lgkmcnt(0)
	v_add_f64 v[2:3], v[4:5], v[6:7]
	v_mov_b32_e32 v15, 0
	ds_read_b64 v[26:27], v15 offset:3880
	v_add_f64 v[0:1], v[4:5], -v[6:7]
	v_mov_b32_e32 v10, 0
	v_mov_b32_e32 v8, 0
	;; [unrolled: 1-line block ×3, first 2 shown]
	s_waitcnt lgkmcnt(0)
	v_xor_b32_e32 v27, 0x80000000, v27
	ds_write_b64 v15, v[26:27] offset:3880
	ds_write_b64 v24, v[2:3]
	v_mov_b32_e32 v2, v10
	v_mov_b32_e32 v9, 0
	;; [unrolled: 1-line block ×3, first 2 shown]
.LBB0_19:
	s_or_b64 exec, exec, s[4:5]
	v_mov_b32_e32 v21, 0
	s_waitcnt lgkmcnt(0)
	v_lshlrev_b64 v[4:5], 4, v[20:21]
	v_mov_b32_e32 v6, s7
	v_add_co_u32_e32 v4, vcc, s6, v4
	v_addc_co_u32_e32 v5, vcc, v6, v5, vcc
	global_load_dwordx4 v[4:7], v[4:5], off
	v_mov_b32_e32 v23, v21
	v_lshlrev_b64 v[20:21], 4, v[22:23]
	v_mov_b32_e32 v15, s7
	v_add_co_u32_e32 v20, vcc, s6, v20
	v_addc_co_u32_e32 v21, vcc, v15, v21, vcc
	global_load_dwordx4 v[20:23], v[20:21], off
	ds_write_b64 v24, v[10:11] offset:8
	ds_write_b128 v13, v[0:3] offset:7744
	v_add_u32_e32 v17, v25, v14
	ds_read_b128 v[0:3], v17
	ds_read_b128 v[25:28], v13 offset:7040
	s_waitcnt lgkmcnt(0)
	v_add_f64 v[10:11], v[0:1], -v[25:26]
	v_add_f64 v[14:15], v[2:3], v[27:28]
	v_add_f64 v[2:3], v[2:3], -v[27:28]
	v_add_f64 v[25:26], v[0:1], v[25:26]
	v_lshlrev_b64 v[0:1], 4, v[8:9]
	v_mov_b32_e32 v8, s7
	v_mul_f64 v[10:11], v[10:11], 0.5
	v_mul_f64 v[14:15], v[14:15], 0.5
	;; [unrolled: 1-line block ×3, first 2 shown]
	s_waitcnt vmcnt(1)
	v_mul_f64 v[27:28], v[10:11], v[6:7]
	v_fma_f64 v[29:30], v[14:15], v[6:7], v[2:3]
	v_fma_f64 v[31:32], v[14:15], v[6:7], -v[2:3]
	v_add_co_u32_e32 v2, vcc, s6, v0
	v_addc_co_u32_e32 v3, vcc, v8, v1, vcc
	global_load_dwordx4 v[6:9], v[2:3], off offset:2112
	v_fma_f64 v[33:34], v[25:26], 0.5, v[27:28]
	v_fma_f64 v[35:36], v[25:26], 0.5, -v[27:28]
	v_fma_f64 v[27:28], -v[4:5], v[10:11], v[29:30]
	v_fma_f64 v[31:32], -v[4:5], v[10:11], v[31:32]
	v_cmp_gt_u32_e32 vcc, 22, v16
	v_fma_f64 v[25:26], v[14:15], v[4:5], v[33:34]
	v_fma_f64 v[29:30], -v[14:15], v[4:5], v[35:36]
	ds_write_b128 v17, v[25:28]
	ds_write_b128 v13, v[29:32] offset:7040
	ds_read_b128 v[25:28], v12
	ds_read_b128 v[29:32], v13 offset:6336
	s_waitcnt lgkmcnt(0)
	v_add_f64 v[4:5], v[25:26], -v[29:30]
	v_add_f64 v[10:11], v[27:28], v[31:32]
	v_add_f64 v[14:15], v[27:28], -v[31:32]
	v_add_f64 v[25:26], v[25:26], v[29:30]
	v_mul_f64 v[4:5], v[4:5], 0.5
	v_mul_f64 v[10:11], v[10:11], 0.5
	;; [unrolled: 1-line block ×3, first 2 shown]
	s_waitcnt vmcnt(1)
	v_mul_f64 v[27:28], v[4:5], v[22:23]
	v_fma_f64 v[29:30], v[10:11], v[22:23], v[14:15]
	v_fma_f64 v[14:15], v[10:11], v[22:23], -v[14:15]
	v_fma_f64 v[33:34], v[25:26], 0.5, v[27:28]
	v_fma_f64 v[35:36], v[25:26], 0.5, -v[27:28]
	global_load_dwordx4 v[25:28], v[2:3], off offset:2816
	v_fma_f64 v[31:32], -v[20:21], v[4:5], v[29:30]
	v_fma_f64 v[22:23], -v[20:21], v[4:5], v[14:15]
	v_fma_f64 v[29:30], v[10:11], v[20:21], v[33:34]
	v_fma_f64 v[20:21], -v[10:11], v[20:21], v[35:36]
	ds_write_b128 v12, v[29:32]
	ds_write_b128 v13, v[20:23] offset:6336
	ds_read_b128 v[20:23], v24 offset:2112
	ds_read_b128 v[29:32], v13 offset:5632
	s_waitcnt lgkmcnt(0)
	v_add_f64 v[4:5], v[20:21], -v[29:30]
	v_add_f64 v[10:11], v[22:23], v[31:32]
	v_add_f64 v[14:15], v[22:23], -v[31:32]
	v_mul_f64 v[4:5], v[4:5], 0.5
	v_mul_f64 v[31:32], v[10:11], 0.5
	;; [unrolled: 1-line block ×3, first 2 shown]
	v_add_f64 v[14:15], v[20:21], v[29:30]
	s_waitcnt vmcnt(1)
	v_mul_f64 v[20:21], v[4:5], v[8:9]
	v_fma_f64 v[22:23], v[31:32], v[8:9], v[10:11]
	v_fma_f64 v[8:9], v[31:32], v[8:9], -v[10:11]
	v_fma_f64 v[29:30], v[14:15], 0.5, v[20:21]
	v_fma_f64 v[14:15], v[14:15], 0.5, -v[20:21]
	v_fma_f64 v[10:11], -v[6:7], v[4:5], v[22:23]
	v_fma_f64 v[22:23], -v[6:7], v[4:5], v[8:9]
	v_fma_f64 v[8:9], v[31:32], v[6:7], v[29:30]
	v_fma_f64 v[20:21], -v[31:32], v[6:7], v[14:15]
	ds_write_b128 v24, v[8:11] offset:2112
	ds_write_b128 v13, v[20:23] offset:5632
	ds_read_b128 v[4:7], v24 offset:2816
	ds_read_b128 v[8:11], v13 offset:4928
	s_waitcnt lgkmcnt(0)
	v_add_f64 v[14:15], v[4:5], -v[8:9]
	v_add_f64 v[20:21], v[6:7], v[10:11]
	v_add_f64 v[6:7], v[6:7], -v[10:11]
	v_add_f64 v[4:5], v[4:5], v[8:9]
	v_mul_f64 v[10:11], v[14:15], 0.5
	v_mul_f64 v[14:15], v[20:21], 0.5
	;; [unrolled: 1-line block ×3, first 2 shown]
	s_waitcnt vmcnt(0)
	v_mul_f64 v[8:9], v[10:11], v[27:28]
	v_fma_f64 v[20:21], v[14:15], v[27:28], v[6:7]
	v_fma_f64 v[22:23], v[14:15], v[27:28], -v[6:7]
	v_fma_f64 v[27:28], v[4:5], 0.5, v[8:9]
	v_fma_f64 v[8:9], v[4:5], 0.5, -v[8:9]
	v_fma_f64 v[6:7], -v[25:26], v[10:11], v[20:21]
	v_fma_f64 v[10:11], -v[25:26], v[10:11], v[22:23]
	v_fma_f64 v[4:5], v[14:15], v[25:26], v[27:28]
	v_fma_f64 v[8:9], -v[14:15], v[25:26], v[8:9]
	ds_write_b128 v24, v[4:7] offset:2816
	ds_write_b128 v13, v[8:11] offset:4928
	s_and_saveexec_b64 s[4:5], vcc
	s_cbranch_execz .LBB0_21
; %bb.20:
	global_load_dwordx4 v[2:5], v[2:3], off offset:3520
	ds_read_b128 v[6:9], v24 offset:3520
	ds_read_b128 v[20:23], v13 offset:4224
	s_waitcnt lgkmcnt(0)
	v_add_f64 v[10:11], v[6:7], -v[20:21]
	v_add_f64 v[14:15], v[8:9], v[22:23]
	v_add_f64 v[8:9], v[8:9], -v[22:23]
	v_add_f64 v[6:7], v[6:7], v[20:21]
	v_mul_f64 v[10:11], v[10:11], 0.5
	v_mul_f64 v[14:15], v[14:15], 0.5
	v_mul_f64 v[8:9], v[8:9], 0.5
	s_waitcnt vmcnt(0)
	v_mul_f64 v[20:21], v[10:11], v[4:5]
	v_fma_f64 v[22:23], v[14:15], v[4:5], v[8:9]
	v_fma_f64 v[4:5], v[14:15], v[4:5], -v[8:9]
	v_fma_f64 v[8:9], v[6:7], 0.5, v[20:21]
	v_fma_f64 v[20:21], v[6:7], 0.5, -v[20:21]
	v_fma_f64 v[6:7], -v[2:3], v[10:11], v[22:23]
	v_fma_f64 v[10:11], -v[2:3], v[10:11], v[4:5]
	v_fma_f64 v[4:5], v[14:15], v[2:3], v[8:9]
	v_fma_f64 v[8:9], -v[14:15], v[2:3], v[20:21]
	ds_write_b128 v24, v[4:7] offset:3520
	ds_write_b128 v13, v[8:11] offset:4224
.LBB0_21:
	s_or_b64 exec, exec, s[4:5]
	s_waitcnt lgkmcnt(0)
	; wave barrier
	s_waitcnt lgkmcnt(0)
	s_and_saveexec_b64 s[4:5], s[0:1]
	s_cbranch_execz .LBB0_24
; %bb.22:
	ds_read_b128 v[4:7], v24
	ds_read_b128 v[8:11], v24 offset:704
	v_mov_b32_e32 v2, s3
	v_add_co_u32_e32 v3, vcc, s2, v18
	v_addc_co_u32_e32 v2, vcc, v2, v19, vcc
	v_add_co_u32_e32 v0, vcc, v3, v0
	v_addc_co_u32_e32 v1, vcc, v2, v1, vcc
	s_waitcnt lgkmcnt(1)
	global_store_dwordx4 v[0:1], v[4:7], off
	ds_read_b128 v[4:7], v24 offset:1408
	ds_read_b128 v[12:15], v24 offset:2112
	;; [unrolled: 1-line block ×4, first 2 shown]
	s_waitcnt lgkmcnt(4)
	global_store_dwordx4 v[0:1], v[8:11], off offset:704
	s_waitcnt lgkmcnt(3)
	global_store_dwordx4 v[0:1], v[4:7], off offset:1408
	;; [unrolled: 2-line block ×5, first 2 shown]
	ds_read_b128 v[4:7], v24 offset:4224
	ds_read_b128 v[8:11], v24 offset:4928
	;; [unrolled: 1-line block ×5, first 2 shown]
	s_movk_i32 s0, 0x1000
	v_add_co_u32_e32 v0, vcc, s0, v0
	v_addc_co_u32_e32 v1, vcc, 0, v1, vcc
	v_cmp_eq_u32_e32 vcc, 43, v16
	s_waitcnt lgkmcnt(4)
	global_store_dwordx4 v[0:1], v[4:7], off offset:128
	s_waitcnt lgkmcnt(3)
	global_store_dwordx4 v[0:1], v[8:11], off offset:832
	;; [unrolled: 2-line block ×5, first 2 shown]
	s_and_b64 exec, exec, vcc
	s_cbranch_execz .LBB0_24
; %bb.23:
	v_mov_b32_e32 v0, 0
	ds_read_b128 v[4:7], v0 offset:7744
	v_add_co_u32_e32 v0, vcc, 0x1000, v3
	v_addc_co_u32_e32 v1, vcc, 0, v2, vcc
	s_waitcnt lgkmcnt(0)
	global_store_dwordx4 v[0:1], v[4:7], off offset:3648
.LBB0_24:
	s_endpgm
	.section	.rodata,"a",@progbits
	.p2align	6, 0x0
	.amdhsa_kernel fft_rtc_back_len484_factors_4_11_11_wgs_44_tpt_44_dp_ip_CI_unitstride_sbrr_R2C_dirReg
		.amdhsa_group_segment_fixed_size 0
		.amdhsa_private_segment_fixed_size 0
		.amdhsa_kernarg_size 88
		.amdhsa_user_sgpr_count 6
		.amdhsa_user_sgpr_private_segment_buffer 1
		.amdhsa_user_sgpr_dispatch_ptr 0
		.amdhsa_user_sgpr_queue_ptr 0
		.amdhsa_user_sgpr_kernarg_segment_ptr 1
		.amdhsa_user_sgpr_dispatch_id 0
		.amdhsa_user_sgpr_flat_scratch_init 0
		.amdhsa_user_sgpr_private_segment_size 0
		.amdhsa_uses_dynamic_stack 0
		.amdhsa_system_sgpr_private_segment_wavefront_offset 0
		.amdhsa_system_sgpr_workgroup_id_x 1
		.amdhsa_system_sgpr_workgroup_id_y 0
		.amdhsa_system_sgpr_workgroup_id_z 0
		.amdhsa_system_sgpr_workgroup_info 0
		.amdhsa_system_vgpr_workitem_id 0
		.amdhsa_next_free_vgpr 114
		.amdhsa_next_free_sgpr 38
		.amdhsa_reserve_vcc 1
		.amdhsa_reserve_flat_scratch 0
		.amdhsa_float_round_mode_32 0
		.amdhsa_float_round_mode_16_64 0
		.amdhsa_float_denorm_mode_32 3
		.amdhsa_float_denorm_mode_16_64 3
		.amdhsa_dx10_clamp 1
		.amdhsa_ieee_mode 1
		.amdhsa_fp16_overflow 0
		.amdhsa_exception_fp_ieee_invalid_op 0
		.amdhsa_exception_fp_denorm_src 0
		.amdhsa_exception_fp_ieee_div_zero 0
		.amdhsa_exception_fp_ieee_overflow 0
		.amdhsa_exception_fp_ieee_underflow 0
		.amdhsa_exception_fp_ieee_inexact 0
		.amdhsa_exception_int_div_zero 0
	.end_amdhsa_kernel
	.text
.Lfunc_end0:
	.size	fft_rtc_back_len484_factors_4_11_11_wgs_44_tpt_44_dp_ip_CI_unitstride_sbrr_R2C_dirReg, .Lfunc_end0-fft_rtc_back_len484_factors_4_11_11_wgs_44_tpt_44_dp_ip_CI_unitstride_sbrr_R2C_dirReg
                                        ; -- End function
	.section	.AMDGPU.csdata,"",@progbits
; Kernel info:
; codeLenInByte = 9920
; NumSgprs: 42
; NumVgprs: 114
; ScratchSize: 0
; MemoryBound: 0
; FloatMode: 240
; IeeeMode: 1
; LDSByteSize: 0 bytes/workgroup (compile time only)
; SGPRBlocks: 5
; VGPRBlocks: 28
; NumSGPRsForWavesPerEU: 42
; NumVGPRsForWavesPerEU: 114
; Occupancy: 2
; WaveLimiterHint : 1
; COMPUTE_PGM_RSRC2:SCRATCH_EN: 0
; COMPUTE_PGM_RSRC2:USER_SGPR: 6
; COMPUTE_PGM_RSRC2:TRAP_HANDLER: 0
; COMPUTE_PGM_RSRC2:TGID_X_EN: 1
; COMPUTE_PGM_RSRC2:TGID_Y_EN: 0
; COMPUTE_PGM_RSRC2:TGID_Z_EN: 0
; COMPUTE_PGM_RSRC2:TIDIG_COMP_CNT: 0
	.type	__hip_cuid_564ab8a1e33df569,@object ; @__hip_cuid_564ab8a1e33df569
	.section	.bss,"aw",@nobits
	.globl	__hip_cuid_564ab8a1e33df569
__hip_cuid_564ab8a1e33df569:
	.byte	0                               ; 0x0
	.size	__hip_cuid_564ab8a1e33df569, 1

	.ident	"AMD clang version 19.0.0git (https://github.com/RadeonOpenCompute/llvm-project roc-6.4.0 25133 c7fe45cf4b819c5991fe208aaa96edf142730f1d)"
	.section	".note.GNU-stack","",@progbits
	.addrsig
	.addrsig_sym __hip_cuid_564ab8a1e33df569
	.amdgpu_metadata
---
amdhsa.kernels:
  - .args:
      - .actual_access:  read_only
        .address_space:  global
        .offset:         0
        .size:           8
        .value_kind:     global_buffer
      - .offset:         8
        .size:           8
        .value_kind:     by_value
      - .actual_access:  read_only
        .address_space:  global
        .offset:         16
        .size:           8
        .value_kind:     global_buffer
      - .actual_access:  read_only
        .address_space:  global
        .offset:         24
        .size:           8
        .value_kind:     global_buffer
      - .offset:         32
        .size:           8
        .value_kind:     by_value
      - .actual_access:  read_only
        .address_space:  global
        .offset:         40
        .size:           8
        .value_kind:     global_buffer
      - .actual_access:  read_only
        .address_space:  global
        .offset:         48
        .size:           8
        .value_kind:     global_buffer
      - .offset:         56
        .size:           4
        .value_kind:     by_value
      - .actual_access:  read_only
        .address_space:  global
        .offset:         64
        .size:           8
        .value_kind:     global_buffer
      - .actual_access:  read_only
        .address_space:  global
        .offset:         72
        .size:           8
        .value_kind:     global_buffer
      - .address_space:  global
        .offset:         80
        .size:           8
        .value_kind:     global_buffer
    .group_segment_fixed_size: 0
    .kernarg_segment_align: 8
    .kernarg_segment_size: 88
    .language:       OpenCL C
    .language_version:
      - 2
      - 0
    .max_flat_workgroup_size: 44
    .name:           fft_rtc_back_len484_factors_4_11_11_wgs_44_tpt_44_dp_ip_CI_unitstride_sbrr_R2C_dirReg
    .private_segment_fixed_size: 0
    .sgpr_count:     42
    .sgpr_spill_count: 0
    .symbol:         fft_rtc_back_len484_factors_4_11_11_wgs_44_tpt_44_dp_ip_CI_unitstride_sbrr_R2C_dirReg.kd
    .uniform_work_group_size: 1
    .uses_dynamic_stack: false
    .vgpr_count:     114
    .vgpr_spill_count: 0
    .wavefront_size: 64
amdhsa.target:   amdgcn-amd-amdhsa--gfx906
amdhsa.version:
  - 1
  - 2
...

	.end_amdgpu_metadata
